;; amdgpu-corpus repo=ROCm/rocFFT kind=compiled arch=gfx1030 opt=O3
	.text
	.amdgcn_target "amdgcn-amd-amdhsa--gfx1030"
	.amdhsa_code_object_version 6
	.protected	fft_rtc_fwd_len847_factors_11_7_11_wgs_231_tpt_77_halfLds_half_op_CI_CI_unitstride_sbrr_dirReg ; -- Begin function fft_rtc_fwd_len847_factors_11_7_11_wgs_231_tpt_77_halfLds_half_op_CI_CI_unitstride_sbrr_dirReg
	.globl	fft_rtc_fwd_len847_factors_11_7_11_wgs_231_tpt_77_halfLds_half_op_CI_CI_unitstride_sbrr_dirReg
	.p2align	8
	.type	fft_rtc_fwd_len847_factors_11_7_11_wgs_231_tpt_77_halfLds_half_op_CI_CI_unitstride_sbrr_dirReg,@function
fft_rtc_fwd_len847_factors_11_7_11_wgs_231_tpt_77_halfLds_half_op_CI_CI_unitstride_sbrr_dirReg: ; @fft_rtc_fwd_len847_factors_11_7_11_wgs_231_tpt_77_halfLds_half_op_CI_CI_unitstride_sbrr_dirReg
; %bb.0:
	s_load_dwordx4 s[12:15], s[4:5], 0x0
	v_mul_u32_u24_e32 v1, 0x354, v0
	s_clause 0x1
	s_load_dwordx4 s[8:11], s[4:5], 0x58
	s_load_dwordx4 s[16:19], s[4:5], 0x18
	v_mov_b32_e32 v5, 0
	v_mov_b32_e32 v6, 0
	v_lshrrev_b32_e32 v2, 16, v1
	v_mov_b32_e32 v1, 0
	v_mov_b32_e32 v9, v6
	;; [unrolled: 1-line block ×3, first 2 shown]
	v_mad_u64_u32 v[3:4], null, s6, 3, v[2:3]
	v_mov_b32_e32 v4, v1
	v_mov_b32_e32 v13, v4
	;; [unrolled: 1-line block ×3, first 2 shown]
	s_waitcnt lgkmcnt(0)
	v_cmp_lt_u64_e64 s0, s[14:15], 2
	s_and_b32 vcc_lo, exec_lo, s0
	s_cbranch_vccnz .LBB0_8
; %bb.1:
	s_load_dwordx2 s[0:1], s[4:5], 0x10
	v_mov_b32_e32 v5, 0
	v_mov_b32_e32 v6, 0
	s_add_u32 s2, s18, 8
	v_mov_b32_e32 v11, v4
	s_addc_u32 s3, s19, 0
	v_mov_b32_e32 v10, v3
	v_mov_b32_e32 v9, v6
	s_add_u32 s6, s16, 8
	v_mov_b32_e32 v8, v5
	s_addc_u32 s7, s17, 0
	s_mov_b64 s[22:23], 1
	s_waitcnt lgkmcnt(0)
	s_add_u32 s20, s0, 8
	s_addc_u32 s21, s1, 0
.LBB0_2:                                ; =>This Inner Loop Header: Depth=1
	s_load_dwordx2 s[24:25], s[20:21], 0x0
                                        ; implicit-def: $vgpr12_vgpr13
	s_mov_b32 s0, exec_lo
	s_waitcnt lgkmcnt(0)
	v_or_b32_e32 v2, s25, v11
	v_cmpx_ne_u64_e32 0, v[1:2]
	s_xor_b32 s1, exec_lo, s0
	s_cbranch_execz .LBB0_4
; %bb.3:                                ;   in Loop: Header=BB0_2 Depth=1
	v_cvt_f32_u32_e32 v2, s24
	v_cvt_f32_u32_e32 v4, s25
	s_sub_u32 s0, 0, s24
	s_subb_u32 s26, 0, s25
	v_fmac_f32_e32 v2, 0x4f800000, v4
	v_rcp_f32_e32 v2, v2
	v_mul_f32_e32 v2, 0x5f7ffffc, v2
	v_mul_f32_e32 v4, 0x2f800000, v2
	v_trunc_f32_e32 v4, v4
	v_fmac_f32_e32 v2, 0xcf800000, v4
	v_cvt_u32_f32_e32 v4, v4
	v_cvt_u32_f32_e32 v2, v2
	v_mul_lo_u32 v7, s0, v4
	v_mul_hi_u32 v12, s0, v2
	v_mul_lo_u32 v13, s26, v2
	v_add_nc_u32_e32 v7, v12, v7
	v_mul_lo_u32 v12, s0, v2
	v_add_nc_u32_e32 v7, v7, v13
	v_mul_hi_u32 v13, v2, v12
	v_mul_lo_u32 v14, v2, v7
	v_mul_hi_u32 v15, v2, v7
	v_mul_hi_u32 v16, v4, v12
	v_mul_lo_u32 v12, v4, v12
	v_mul_hi_u32 v17, v4, v7
	v_mul_lo_u32 v7, v4, v7
	v_add_co_u32 v13, vcc_lo, v13, v14
	v_add_co_ci_u32_e32 v14, vcc_lo, 0, v15, vcc_lo
	v_add_co_u32 v12, vcc_lo, v13, v12
	v_add_co_ci_u32_e32 v12, vcc_lo, v14, v16, vcc_lo
	v_add_co_ci_u32_e32 v13, vcc_lo, 0, v17, vcc_lo
	v_add_co_u32 v7, vcc_lo, v12, v7
	v_add_co_ci_u32_e32 v12, vcc_lo, 0, v13, vcc_lo
	v_add_co_u32 v2, vcc_lo, v2, v7
	v_add_co_ci_u32_e32 v4, vcc_lo, v4, v12, vcc_lo
	v_mul_hi_u32 v7, s0, v2
	v_mul_lo_u32 v13, s26, v2
	v_mul_lo_u32 v12, s0, v4
	v_add_nc_u32_e32 v7, v7, v12
	v_mul_lo_u32 v12, s0, v2
	v_add_nc_u32_e32 v7, v7, v13
	v_mul_hi_u32 v13, v2, v12
	v_mul_lo_u32 v14, v2, v7
	v_mul_hi_u32 v15, v2, v7
	v_mul_hi_u32 v16, v4, v12
	v_mul_lo_u32 v12, v4, v12
	v_mul_hi_u32 v17, v4, v7
	v_mul_lo_u32 v7, v4, v7
	v_add_co_u32 v13, vcc_lo, v13, v14
	v_add_co_ci_u32_e32 v14, vcc_lo, 0, v15, vcc_lo
	v_add_co_u32 v12, vcc_lo, v13, v12
	v_add_co_ci_u32_e32 v12, vcc_lo, v14, v16, vcc_lo
	v_add_co_ci_u32_e32 v13, vcc_lo, 0, v17, vcc_lo
	v_add_co_u32 v7, vcc_lo, v12, v7
	v_add_co_ci_u32_e32 v12, vcc_lo, 0, v13, vcc_lo
	v_add_co_u32 v2, vcc_lo, v2, v7
	v_add_co_ci_u32_e32 v4, vcc_lo, v4, v12, vcc_lo
	v_mul_hi_u32 v7, v10, v2
	v_mad_u64_u32 v[14:15], null, v11, v2, 0
	v_mad_u64_u32 v[12:13], null, v10, v4, 0
	;; [unrolled: 1-line block ×3, first 2 shown]
	v_add_co_u32 v2, vcc_lo, v7, v12
	v_add_co_ci_u32_e32 v4, vcc_lo, 0, v13, vcc_lo
	v_add_co_u32 v2, vcc_lo, v2, v14
	v_add_co_ci_u32_e32 v2, vcc_lo, v4, v15, vcc_lo
	v_add_co_ci_u32_e32 v4, vcc_lo, 0, v17, vcc_lo
	v_add_co_u32 v2, vcc_lo, v2, v16
	v_add_co_ci_u32_e32 v4, vcc_lo, 0, v4, vcc_lo
	v_mul_lo_u32 v7, s25, v2
	v_mad_u64_u32 v[12:13], null, s24, v2, 0
	v_mul_lo_u32 v14, s24, v4
	v_sub_co_u32 v12, vcc_lo, v10, v12
	v_add3_u32 v7, v13, v14, v7
	v_sub_nc_u32_e32 v13, v11, v7
	v_subrev_co_ci_u32_e64 v13, s0, s25, v13, vcc_lo
	v_add_co_u32 v14, s0, v2, 2
	v_add_co_ci_u32_e64 v15, s0, 0, v4, s0
	v_sub_co_u32 v16, s0, v12, s24
	v_sub_co_ci_u32_e32 v7, vcc_lo, v11, v7, vcc_lo
	v_subrev_co_ci_u32_e64 v13, s0, 0, v13, s0
	v_cmp_le_u32_e32 vcc_lo, s24, v16
	v_cmp_eq_u32_e64 s0, s25, v7
	v_cndmask_b32_e64 v16, 0, -1, vcc_lo
	v_cmp_le_u32_e32 vcc_lo, s25, v13
	v_cndmask_b32_e64 v17, 0, -1, vcc_lo
	v_cmp_le_u32_e32 vcc_lo, s24, v12
	;; [unrolled: 2-line block ×3, first 2 shown]
	v_cndmask_b32_e64 v18, 0, -1, vcc_lo
	v_cmp_eq_u32_e32 vcc_lo, s25, v13
	v_cndmask_b32_e64 v7, v18, v12, s0
	v_cndmask_b32_e32 v13, v17, v16, vcc_lo
	v_add_co_u32 v16, vcc_lo, v2, 1
	v_add_co_ci_u32_e32 v17, vcc_lo, 0, v4, vcc_lo
	v_cmp_ne_u32_e32 vcc_lo, 0, v13
	v_cndmask_b32_e32 v12, v17, v15, vcc_lo
	v_cndmask_b32_e32 v14, v16, v14, vcc_lo
	v_cmp_ne_u32_e32 vcc_lo, 0, v7
	v_cndmask_b32_e32 v13, v4, v12, vcc_lo
	v_cndmask_b32_e32 v12, v2, v14, vcc_lo
.LBB0_4:                                ;   in Loop: Header=BB0_2 Depth=1
	s_andn2_saveexec_b32 s0, s1
	s_cbranch_execz .LBB0_6
; %bb.5:                                ;   in Loop: Header=BB0_2 Depth=1
	v_cvt_f32_u32_e32 v2, s24
	s_sub_i32 s1, 0, s24
	v_mov_b32_e32 v13, v1
	v_rcp_iflag_f32_e32 v2, v2
	v_mul_f32_e32 v2, 0x4f7ffffe, v2
	v_cvt_u32_f32_e32 v2, v2
	v_mul_lo_u32 v4, s1, v2
	v_mul_hi_u32 v4, v2, v4
	v_add_nc_u32_e32 v2, v2, v4
	v_mul_hi_u32 v2, v10, v2
	v_mul_lo_u32 v4, v2, s24
	v_add_nc_u32_e32 v7, 1, v2
	v_sub_nc_u32_e32 v4, v10, v4
	v_subrev_nc_u32_e32 v12, s24, v4
	v_cmp_le_u32_e32 vcc_lo, s24, v4
	v_cndmask_b32_e32 v4, v4, v12, vcc_lo
	v_cndmask_b32_e32 v2, v2, v7, vcc_lo
	v_cmp_le_u32_e32 vcc_lo, s24, v4
	v_add_nc_u32_e32 v7, 1, v2
	v_cndmask_b32_e32 v12, v2, v7, vcc_lo
.LBB0_6:                                ;   in Loop: Header=BB0_2 Depth=1
	s_or_b32 exec_lo, exec_lo, s0
	v_mul_lo_u32 v2, v13, s24
	v_mul_lo_u32 v4, v12, s25
	s_load_dwordx2 s[0:1], s[6:7], 0x0
	v_mad_u64_u32 v[14:15], null, v12, s24, 0
	s_load_dwordx2 s[24:25], s[2:3], 0x0
	s_add_u32 s22, s22, 1
	s_addc_u32 s23, s23, 0
	s_add_u32 s2, s2, 8
	s_addc_u32 s3, s3, 0
	s_add_u32 s6, s6, 8
	v_add3_u32 v2, v15, v4, v2
	v_sub_co_u32 v4, vcc_lo, v10, v14
	s_addc_u32 s7, s7, 0
	s_add_u32 s20, s20, 8
	v_sub_co_ci_u32_e32 v2, vcc_lo, v11, v2, vcc_lo
	s_addc_u32 s21, s21, 0
	s_waitcnt lgkmcnt(0)
	v_mul_lo_u32 v7, s0, v2
	v_mul_lo_u32 v10, s1, v4
	v_mad_u64_u32 v[5:6], null, s0, v4, v[5:6]
	v_mul_lo_u32 v2, s24, v2
	v_mul_lo_u32 v11, s25, v4
	v_mad_u64_u32 v[8:9], null, s24, v4, v[8:9]
	v_cmp_ge_u64_e64 s0, s[22:23], s[14:15]
	v_add3_u32 v6, v10, v6, v7
	v_add3_u32 v9, v11, v9, v2
	s_and_b32 vcc_lo, exec_lo, s0
	s_cbranch_vccnz .LBB0_8
; %bb.7:                                ;   in Loop: Header=BB0_2 Depth=1
	v_mov_b32_e32 v10, v12
	v_mov_b32_e32 v11, v13
	s_branch .LBB0_2
.LBB0_8:
	s_load_dwordx2 s[0:1], s[4:5], 0x28
	v_mul_hi_u32 v2, 0x3531ded, v0
	s_lshl_b64 s[4:5], s[14:15], 3
                                        ; implicit-def: $sgpr14
                                        ; implicit-def: $sgpr6_sgpr7
                                        ; implicit-def: $vgpr1
	s_add_u32 s2, s18, s4
	s_addc_u32 s3, s19, s5
	s_waitcnt lgkmcnt(0)
	v_cmp_gt_u64_e32 vcc_lo, s[0:1], v[12:13]
	v_cmp_le_u64_e64 s0, s[0:1], v[12:13]
	s_and_saveexec_b32 s1, s0
	s_xor_b32 s0, exec_lo, s1
; %bb.9:
	v_mul_u32_u24_e32 v1, 0x4d, v2
	s_mov_b64 s[6:7], 0
	s_mov_b32 s14, 0
                                        ; implicit-def: $vgpr2
                                        ; implicit-def: $vgpr5_vgpr6
	v_sub_nc_u32_e32 v1, v0, v1
                                        ; implicit-def: $vgpr0
; %bb.10:
	s_or_saveexec_b32 s1, s0
	v_mov_b32_e32 v11, s7
	v_mov_b32_e32 v10, s6
	;; [unrolled: 1-line block ×3, first 2 shown]
                                        ; implicit-def: $vgpr41
                                        ; implicit-def: $vgpr36
                                        ; implicit-def: $vgpr40
                                        ; implicit-def: $vgpr34
                                        ; implicit-def: $vgpr38
                                        ; implicit-def: $vgpr33
                                        ; implicit-def: $vgpr37
                                        ; implicit-def: $vgpr32
                                        ; implicit-def: $vgpr26
                                        ; implicit-def: $vgpr24
                                        ; implicit-def: $vgpr31
                                        ; implicit-def: $vgpr35
                                        ; implicit-def: $vgpr30
                                        ; implicit-def: $vgpr39
                                        ; implicit-def: $vgpr29
                                        ; implicit-def: $vgpr42
                                        ; implicit-def: $vgpr28
                                        ; implicit-def: $vgpr43
                                        ; implicit-def: $vgpr27
                                        ; implicit-def: $vgpr25
	s_xor_b32 exec_lo, exec_lo, s1
	s_cbranch_execz .LBB0_12
; %bb.11:
	s_add_u32 s4, s16, s4
	s_addc_u32 s5, s17, s5
	s_load_dwordx2 s[4:5], s[4:5], 0x0
	s_waitcnt lgkmcnt(0)
	v_mul_lo_u32 v1, s5, v12
	v_mul_lo_u32 v4, s4, v13
	v_mad_u64_u32 v[10:11], null, s4, v12, 0
	v_add3_u32 v11, v11, v4, v1
	v_mul_u32_u24_e32 v1, 0x4d, v2
	v_lshlrev_b64 v[4:5], 2, v[5:6]
	v_lshlrev_b64 v[10:11], 2, v[10:11]
	v_sub_nc_u32_e32 v1, v0, v1
	v_lshlrev_b32_e32 v6, 2, v1
	v_add_co_u32 v0, s0, s8, v10
	v_add_co_ci_u32_e64 v2, s0, s9, v11, s0
	v_add_co_u32 v0, s0, v0, v4
	v_add_co_ci_u32_e64 v2, s0, v2, v5, s0
	;; [unrolled: 2-line block ×3, first 2 shown]
	v_mov_b32_e32 v2, 0
	v_add_co_u32 v6, s0, 0x800, v4
	v_add_co_ci_u32_e64 v7, s0, 0, v5, s0
	s_clause 0xa
	global_load_dword v36, v[4:5], off offset:308
	global_load_dword v34, v[4:5], off offset:616
	;; [unrolled: 1-line block ×10, first 2 shown]
	global_load_dword v4, v[4:5], off
	v_mov_b32_e32 v11, v2
	v_mov_b32_e32 v10, v1
	s_waitcnt vmcnt(10)
	v_lshrrev_b32_e32 v41, 16, v36
	s_waitcnt vmcnt(9)
	v_lshrrev_b32_e32 v40, 16, v34
	;; [unrolled: 2-line block ×10, first 2 shown]
.LBB0_12:
	s_or_b32 exec_lo, exec_lo, s1
	s_waitcnt vmcnt(0)
	v_add_f16_e32 v0, v36, v4
	v_sub_f16_e32 v6, v41, v28
	v_add_f16_e32 v5, v36, v43
	v_sub_f16_e32 v14, v40, v29
	v_mul_hi_u32 v2, 0xaaaaaaab, v3
	v_add_f16_e32 v0, v34, v0
	v_mul_f16_e32 v22, 0xb482, v6
	v_add_f16_e32 v7, v34, v42
	v_sub_f16_e32 v16, v38, v30
	v_mul_f16_e32 v45, 0x3853, v14
	v_add_f16_e32 v0, v33, v0
	v_fma_f16 v44, v5, 0xbbad, -v22
	v_add_f16_e32 v15, v33, v39
	v_sub_f16_e32 v18, v37, v31
	v_mul_f16_e32 v21, 0xbbad, v5
	v_add_f16_e32 v0, v32, v0
	v_mul_f16_e32 v47, 0xba0c, v16
	v_pk_mul_f16 v50, 0x36a63abb, v5 op_sel_hi:[1,0]
	v_lshrrev_b32_e32 v2, 1, v2
	v_fma_f16 v53, v7, 0x3abb, -v45
	v_add_f16_e32 v0, v24, v0
	v_add_f16_e32 v44, v44, v4
	v_pk_mul_f16 v57, 0xb93db08e, v5 op_sel_hi:[1,0]
	v_pk_mul_f16 v58, 0xba0cbbeb, v6 op_sel_hi:[1,0]
	v_add_f16_e32 v17, v32, v35
	v_add_f16_e32 v0, v25, v0
	v_sub_f16_e32 v20, v26, v27
	v_mul_f16_e32 v23, 0x3abb, v7
	v_mul_f16_e32 v48, 0x3b47, v18
	v_pk_mul_f16 v51, 0xb93d36a6, v7 op_sel_hi:[1,0]
	v_add_f16_e32 v0, v35, v0
	v_fma_f16 v54, v15, 0xb93d, -v47
	v_lshl_add_u32 v2, v2, 1, v2
	v_add_f16_e32 v44, v53, v44
	v_pk_fma_f16 v53, 0xbb47b853, v6, v50 op_sel_hi:[1,0,1] neg_lo:[0,1,0] neg_hi:[0,1,0]
	v_add_f16_e32 v0, v39, v0
	v_pk_fma_f16 v5, 0xb93db08e, v5, v58 op_sel_hi:[1,0,1] neg_lo:[0,0,1] neg_hi:[0,0,1]
	v_pk_mul_f16 v60, 0xb08ebbad, v7 op_sel_hi:[1,0]
	v_pk_mul_f16 v61, 0x3beb3482, v14 op_sel_hi:[1,0]
	v_bfi_b32 v22, 0xffff, v22, v58
	v_bfi_b32 v21, 0xffff, v21, v57
	v_pk_fma_f16 v6, 0xbb47b853, v6, v50 op_sel_hi:[1,0,1]
	v_add_f16_e32 v19, v24, v25
	v_mul_f16_e32 v46, 0xb93d, v15
	v_mul_f16_e32 v49, 0xbbeb, v20
	v_pk_mul_f16 v52, 0xbbadb08e, v15 op_sel_hi:[1,0]
	v_fma_f16 v55, v17, 0x36a6, -v48
	v_sub_nc_u32_e32 v2, v3, v2
	v_add_f16_e32 v3, v42, v0
	v_pk_fma_f16 v56, 0xba0cbb47, v14, v51 op_sel_hi:[1,0,1] neg_lo:[0,1,0] neg_hi:[0,1,0]
	v_add_f16_e32 v44, v54, v44
	v_pk_add_f16 v53, v53, v4 op_sel_hi:[1,0]
	v_add_f16_e32 v59, v58, v57
	v_pk_add_f16 v5, v5, v4 op_sel_hi:[1,0]
	v_pk_fma_f16 v7, 0xb08ebbad, v7, v61 op_sel_hi:[1,0,1] neg_lo:[0,0,1] neg_hi:[0,0,1]
	v_pk_mul_f16 v63, 0x3abb36a6, v15 op_sel_hi:[1,0]
	v_pk_mul_f16 v64, 0xb8533b47, v16 op_sel_hi:[1,0]
	v_pk_add_f16 v21, v22, v21
	v_bfi_b32 v22, 0xffff, v45, v61
	v_bfi_b32 v23, 0xffff, v23, v60
	v_pk_add_f16 v6, v6, v4 op_sel_hi:[1,0]
	v_pk_fma_f16 v14, 0xba0cbb47, v14, v51 op_sel_hi:[1,0,1]
	v_mul_u32_u24_e32 v0, 0x34f, v2
	v_add_f16_e32 v2, v43, v3
	v_mul_f16_e32 v3, 0x36a6, v17
	v_add_f16_e32 v44, v55, v44
	v_fma_f16 v54, v19, 0xb08e, -v49
	v_pk_add_f16 v53, v56, v53
	v_pk_fma_f16 v55, 0x3482bbeb, v16, v52 op_sel_hi:[1,0,1] neg_lo:[0,1,0] neg_hi:[0,1,0]
	v_pk_mul_f16 v56, 0xb08eb93d, v17 op_sel_hi:[1,0]
	v_add_f16_e32 v59, v59, v4
	v_add_f16_e32 v62, v61, v60
	v_pk_add_f16 v5, v7, v5
	v_pk_fma_f16 v15, 0x3abb36a6, v15, v64 op_sel_hi:[1,0,1] neg_lo:[0,0,1] neg_hi:[0,0,1]
	v_pk_mul_f16 v57, 0xbbad3abb, v17 op_sel_hi:[1,0]
	v_pk_mul_f16 v58, 0xb482b853, v18 op_sel_hi:[1,0]
	v_pk_add_f16 v21, v21, v4 op_sel_hi:[1,0]
	v_pk_add_f16 v22, v22, v23
	v_bfi_b32 v23, 0xffff, v47, v64
	v_bfi_b32 v45, 0xffff, v46, v63
	v_pk_add_f16 v6, v14, v6
	v_pk_fma_f16 v14, 0x3482bbeb, v16, v52 op_sel_hi:[1,0,1]
	v_add_f16_e32 v54, v54, v44
	v_pk_add_f16 v44, v55, v53
	v_pk_fma_f16 v53, 0x3bebba0c, v18, v56 op_sel_hi:[1,0,1] neg_lo:[0,1,0] neg_hi:[0,1,0]
	v_pk_mul_f16 v55, 0x3abbbbad, v19 op_sel_hi:[1,0]
	v_add_f16_e32 v59, v62, v59
	v_mul_f16_e32 v62, 0xb08e, v19
	v_pk_add_f16 v5, v15, v5
	v_pk_fma_f16 v17, 0xbbad3abb, v17, v58 op_sel_hi:[1,0,1] neg_lo:[0,0,1] neg_hi:[0,0,1]
	v_pk_mul_f16 v46, 0x36a6b93d, v19 op_sel_hi:[1,0]
	v_pk_add_f16 v21, v22, v21
	v_pk_add_f16 v22, v23, v45
	v_bfi_b32 v23, 0xffff, v48, v58
	v_bfi_b32 v3, 0xffff, v3, v57
	v_pk_mul_f16 v45, 0x3b47ba0c, v20 op_sel_hi:[1,0]
	v_add_f16_e32 v7, v64, v63
	v_pk_add_f16 v6, v14, v6
	v_pk_fma_f16 v14, 0x3bebba0c, v18, v56 op_sel_hi:[1,0,1]
	v_pk_add_f16 v44, v53, v44
	v_pk_fma_f16 v53, 0x3853b482, v20, v55 op_sel_hi:[1,0,1] neg_lo:[0,1,0] neg_hi:[0,1,0]
	v_pk_add_f16 v16, v22, v21
	v_pk_add_f16 v3, v23, v3
	v_bfi_b32 v21, 0xffff, v49, v45
	v_bfi_b32 v22, 0xffff, v62, v46
	v_pk_add_f16 v5, v17, v5
	v_pk_fma_f16 v17, 0x36a6b93d, v19, v45 op_sel_hi:[1,0,1] neg_lo:[0,0,1] neg_hi:[0,0,1]
	v_add_f16_e32 v7, v7, v59
	v_add_f16_e32 v15, v58, v57
	v_pk_add_f16 v6, v14, v6
	v_pk_fma_f16 v14, 0x3853b482, v20, v55 op_sel_hi:[1,0,1]
	v_pk_add_f16 v53, v53, v44
	v_lshl_add_u32 v65, v0, 1, 0
	v_pk_add_f16 v3, v3, v16
	v_pk_add_f16 v16, v21, v22
	;; [unrolled: 1-line block ×3, first 2 shown]
	v_add_f16_e32 v7, v15, v7
	v_add_f16_e32 v19, v45, v46
	v_pk_add_f16 v5, v14, v6
	v_mad_u32_u24 v44, v1, 22, v65
	v_pk_add_f16 v17, v16, v3
	v_alignbit_b32 v16, v54, v18, 16
	v_alignbit_b32 v15, v18, v53, 16
	v_pack_b32_f16 v14, v2, v53
	v_add_f16_e32 v6, v19, v7
	v_alignbit_b32 v2, v5, v5, 16
	s_load_dwordx2 s[2:3], s[2:3], 0x0
	ds_write_b128 v44, v[14:17]
	ds_write_b16 v44, v6 offset:16
	ds_write_b32 v44, v2 offset:18
	v_lshl_add_u32 v16, v1, 1, v65
	v_mad_i32_i24 v45, 0xffffffec, v1, v44
	s_waitcnt lgkmcnt(0)
	s_barrier
	buffer_gl0_inv
	ds_read_u16 v3, v16
	ds_read_u16 v23, v45 offset:242
	ds_read_u16 v22, v45 offset:484
	;; [unrolled: 1-line block ×6, first 2 shown]
	v_lshrrev_b32_e32 v2, 16, v17
	v_cmp_gt_u32_e64 s0, 44, v1
	v_lshrrev_b32_e32 v7, 16, v5
                                        ; implicit-def: $vgpr15
                                        ; implicit-def: $vgpr14
                                        ; implicit-def: $vgpr17
	s_and_saveexec_b32 s1, s0
	s_cbranch_execz .LBB0_14
; %bb.13:
	ds_read_u16 v2, v45 offset:154
	ds_read_u16 v6, v45 offset:396
	;; [unrolled: 1-line block ×7, first 2 shown]
.LBB0_14:
	s_or_b32 exec_lo, exec_lo, s1
	v_add_f16_sdwa v46, v41, v4 dst_sel:DWORD dst_unused:UNUSED_PAD src0_sel:DWORD src1_sel:WORD_1
	v_sub_f16_e32 v36, v36, v43
	v_add_f16_e32 v43, v40, v29
	v_sub_f16_e32 v32, v32, v35
	v_add_f16_e32 v41, v41, v28
	v_add_f16_e32 v40, v40, v46
	v_sub_f16_e32 v34, v34, v42
	v_pk_mul_f16 v51, 0xbb47b853, v36 op_sel_hi:[1,0]
	v_sub_f16_e32 v33, v33, v39
	v_add_f16_e32 v39, v37, v31
	v_add_f16_e32 v35, v38, v40
	v_mul_f16_e32 v40, 0xb482, v36
	v_mul_f16_e32 v47, 0x3853, v34
	v_pk_mul_f16 v52, 0xba0cbb47, v34 op_sel_hi:[1,0]
	v_pk_fma_f16 v58, 0x36a63abb, v41, v51 op_sel_hi:[1,0,1]
	v_add_f16_e32 v35, v37, v35
	v_fmamk_f16 v54, v41, 0xbbad, v40
	v_fmamk_f16 v56, v43, 0x3abb, v47
	v_add_f16_e32 v42, v38, v30
	v_pk_mul_f16 v53, 0x3482bbeb, v33 op_sel_hi:[1,0]
	v_add_f16_e32 v35, v26, v35
	v_add_f16_sdwa v54, v54, v4 dst_sel:DWORD dst_unused:UNUSED_PAD src0_sel:DWORD src1_sel:WORD_1
	v_pk_fma_f16 v59, 0xb93d36a6, v43, v52 op_sel_hi:[1,0,1]
	v_pk_fma_f16 v51, 0x36a63abb, v41, v51 op_sel_hi:[1,0,1] neg_lo:[0,0,1] neg_hi:[0,0,1]
	v_mul_f16_e32 v48, 0xba0c, v33
	v_add_f16_e32 v35, v27, v35
	v_add_f16_e32 v54, v56, v54
	v_pk_add_f16 v56, v58, v4 op_sel:[0,1]
	v_pk_add_f16 v51, v51, v4 op_sel:[0,1]
	v_pk_mul_f16 v36, 0xba0cbbeb, v36 op_sel_hi:[1,0]
	v_add_f16_e32 v31, v31, v35
	v_mul_f16_e32 v38, 0xbbad, v41
	v_mul_f16_e32 v50, 0x3b47, v32
	v_pk_mul_f16 v55, 0x3bebba0c, v32 op_sel_hi:[1,0]
	v_fmamk_f16 v57, v42, 0xb93d, v48
	v_add_f16_e32 v30, v30, v31
	v_pk_fma_f16 v31, 0xbbadb08e, v42, v53 op_sel_hi:[1,0,1]
	v_sub_f16_e32 v24, v24, v25
	v_pk_mul_f16 v34, 0x3beb3482, v34 op_sel_hi:[1,0]
	v_mul_f16_e32 v46, 0x3abb, v43
	v_add_f16_e32 v29, v29, v30
	v_pk_fma_f16 v30, 0xb93d36a6, v43, v52 op_sel_hi:[1,0,1] neg_lo:[0,0,1] neg_hi:[0,0,1]
	v_pk_add_f16 v52, v59, v56
	v_fmamk_f16 v35, v39, 0x36a6, v50
	v_add_f16_e32 v54, v57, v54
	v_add_f16_e32 v28, v28, v29
	v_pk_add_f16 v29, v30, v51
	v_pk_add_f16 v25, v31, v52
	v_pk_fma_f16 v30, 0xbbadb08e, v42, v53 op_sel_hi:[1,0,1] neg_lo:[0,0,1] neg_hi:[0,0,1]
	v_pk_mul_f16 v31, 0xb93db08e, v41 op_sel_hi:[1,0]
	v_pk_fma_f16 v41, 0xb93db08e, v41, v36 op_sel_hi:[1,0,1]
	v_pk_mul_f16 v52, 0xb08ebbad, v43 op_sel_hi:[1,0]
	v_pk_mul_f16 v33, 0xb8533b47, v33 op_sel_hi:[1,0]
	v_pk_add_f16 v29, v30, v29
	v_pk_fma_f16 v30, 0xb08eb93d, v39, v55 op_sel_hi:[1,0,1] neg_lo:[0,0,1] neg_hi:[0,0,1]
	v_sub_f16_e32 v51, v31, v36
	v_pk_add_f16 v41, v41, v4 op_sel:[0,1]
	v_pk_fma_f16 v43, 0xb08ebbad, v43, v34 op_sel_hi:[1,0,1]
	v_bfi_b32 v31, 0xffff, v38, v31
	v_bfi_b32 v36, 0xffff, v40, v36
	v_mul_f16_e32 v37, 0xb93d, v42
	v_add_f16_e32 v35, v35, v54
	v_pk_add_f16 v29, v30, v29
	v_add_f16_sdwa v30, v51, v4 dst_sel:DWORD dst_unused:UNUSED_PAD src0_sel:DWORD src1_sel:WORD_1
	v_sub_f16_e32 v51, v52, v34
	v_pk_mul_f16 v54, 0x3abb36a6, v42 op_sel_hi:[1,0]
	v_pk_mul_f16 v32, 0xb482b853, v32 op_sel_hi:[1,0]
	v_pk_add_f16 v38, v43, v41
	v_pk_fma_f16 v40, 0x3abb36a6, v42, v33 op_sel_hi:[1,0,1]
	v_pk_add_f16 v31, v31, v36 neg_lo:[0,1] neg_hi:[0,1]
	v_bfi_b32 v36, 0xffff, v46, v52
	v_bfi_b32 v34, 0xffff, v47, v34
	v_mul_f16_e32 v49, 0x36a6, v39
	v_add_f16_e32 v26, v26, v27
	v_pk_fma_f16 v27, 0xb08eb93d, v39, v55 op_sel_hi:[1,0,1]
	v_add_f16_e32 v30, v51, v30
	v_sub_f16_e32 v51, v54, v33
	v_pk_mul_f16 v55, 0xbbad3abb, v39 op_sel_hi:[1,0]
	v_pk_add_f16 v38, v40, v38
	v_pk_fma_f16 v39, 0xbbad3abb, v39, v32 op_sel_hi:[1,0,1]
	v_pk_add_f16 v4, v31, v4 op_sel:[0,1]
	v_pk_add_f16 v31, v36, v34 neg_lo:[0,1] neg_hi:[0,1]
	v_bfi_b32 v34, 0xffff, v37, v54
	v_bfi_b32 v33, 0xffff, v48, v33
	v_pk_add_f16 v25, v27, v25
	v_pk_mul_f16 v27, 0x3853b482, v24 op_sel_hi:[1,0]
	v_sub_f16_e32 v41, v55, v32
	v_pk_add_f16 v36, v39, v38
	v_pk_mul_f16 v37, 0x36a6b93d, v26 op_sel_hi:[1,0]
	v_pk_mul_f16 v38, 0x3b47ba0c, v24 op_sel_hi:[1,0]
	v_pk_add_f16 v4, v31, v4
	v_pk_add_f16 v31, v34, v33 neg_lo:[0,1] neg_hi:[0,1]
	v_bfi_b32 v33, 0xffff, v49, v55
	v_bfi_b32 v32, 0xffff, v50, v32
	v_mul_f16_e32 v34, 0xb08e, v26
	v_mul_f16_e32 v24, 0xbbeb, v24
	v_pk_fma_f16 v53, 0x3abbbbad, v26, v27 op_sel_hi:[1,0,1]
	v_add_f16_e32 v30, v51, v30
	v_pk_fma_f16 v39, 0x36a6b93d, v26, v38 op_sel_hi:[1,0,1]
	v_pk_add_f16 v4, v31, v4
	v_pk_add_f16 v31, v33, v32 neg_lo:[0,1] neg_hi:[0,1]
	v_bfi_b32 v32, 0xffff, v34, v37
	v_bfi_b32 v33, 0xffff, v24, v38
	v_fmamk_f16 v24, v26, 0xb08e, v24
	v_pk_fma_f16 v27, 0x3abbbbad, v26, v27 op_sel_hi:[1,0,1] neg_lo:[0,0,1] neg_hi:[0,0,1]
	v_add_f16_e32 v30, v41, v30
	v_sub_f16_e32 v26, v37, v38
	v_pk_add_f16 v34, v39, v36
	v_pk_add_f16 v4, v31, v4
	v_pk_add_f16 v31, v32, v33 neg_lo:[0,1] neg_hi:[0,1]
	v_add_f16_e32 v24, v24, v35
	v_pk_add_f16 v32, v53, v25
	v_pk_add_f16 v25, v27, v29
	v_add_f16_e32 v27, v26, v30
	v_pk_add_f16 v31, v31, v4
	v_alignbit_b32 v30, v24, v34, 16
	v_alignbit_b32 v29, v34, v32, 16
	v_pack_b32_f16 v28, v28, v32
	v_alignbit_b32 v4, v25, v25, 16
	s_waitcnt lgkmcnt(0)
	s_barrier
	buffer_gl0_inv
	ds_write_b128 v44, v[28:31]
	ds_write_b16 v44, v27 offset:16
	ds_write_b32 v44, v4 offset:18
	s_waitcnt lgkmcnt(0)
	s_barrier
	buffer_gl0_inv
	ds_read_u16 v24, v16
	ds_read_u16 v37, v45 offset:242
	ds_read_u16 v36, v45 offset:484
	;; [unrolled: 1-line block ×6, first 2 shown]
	v_lshrrev_b32_e32 v4, 16, v31
	v_lshrrev_b32_e32 v29, 16, v25
                                        ; implicit-def: $vgpr39
                                        ; implicit-def: $vgpr26
                                        ; implicit-def: $vgpr40
	s_and_saveexec_b32 s1, s0
	s_cbranch_execz .LBB0_16
; %bb.15:
	ds_read_u16 v4, v45 offset:154
	ds_read_u16 v27, v45 offset:396
	;; [unrolled: 1-line block ×7, first 2 shown]
.LBB0_16:
	s_or_b32 exec_lo, exec_lo, s1
	v_and_b32_e32 v28, 0xff, v1
	v_add_nc_u16 v31, v1, 0x4d
	v_mov_b32_e32 v42, 6
	v_mov_b32_e32 v44, 1
	v_lshlrev_b32_e32 v0, 1, v0
	v_mul_lo_u16 v28, 0x75, v28
	v_and_b32_e32 v38, 0xff, v31
	v_lshrrev_b16 v28, 8, v28
	v_mul_lo_u16 v38, 0x75, v38
	v_sub_nc_u16 v30, v1, v28
	v_lshrrev_b16 v30, 1, v30
	v_and_b32_e32 v30, 0x7f, v30
	v_add_nc_u16 v28, v30, v28
	v_lshrrev_b16 v30, 8, v38
	v_lshrrev_b16 v38, 3, v28
	v_sub_nc_u16 v28, v31, v30
	v_mul_lo_u16 v41, v38, 11
	v_lshrrev_b16 v28, 1, v28
	v_sub_nc_u16 v41, v1, v41
	v_and_b32_e32 v28, 0x7f, v28
	v_mul_u32_u24_sdwa v43, v41, v42 dst_sel:DWORD dst_unused:UNUSED_PAD src0_sel:BYTE_0 src1_sel:DWORD
	v_add_nc_u16 v28, v28, v30
	v_lshlrev_b32_e32 v30, 2, v43
	v_lshrrev_b16 v43, 3, v28
	s_clause 0x1
	global_load_dwordx4 v[48:51], v30, s[12:13]
	global_load_dwordx2 v[56:57], v30, s[12:13] offset:16
	v_mul_lo_u16 v28, v43, 11
	v_sub_nc_u16 v28, v31, v28
	v_mul_u32_u24_sdwa v30, v28, v42 dst_sel:DWORD dst_unused:UNUSED_PAD src0_sel:BYTE_0 src1_sel:DWORD
	v_lshlrev_b32_e32 v30, 2, v30
	s_clause 0x1
	global_load_dwordx4 v[52:55], v30, s[12:13]
	global_load_dwordx2 v[58:59], v30, s[12:13] offset:16
	v_and_b32_e32 v30, 0xffff, v38
	v_lshlrev_b32_sdwa v38, v44, v41 dst_sel:DWORD dst_unused:UNUSED_PAD src0_sel:DWORD src1_sel:BYTE_0
	s_waitcnt vmcnt(0) lgkmcnt(0)
	s_barrier
	buffer_gl0_inv
	v_mad_u32_u24 v31, 0x9a, v30, 0
	v_and_b32_e32 v30, 0xffff, v43
	v_add3_u32 v31, v31, v38, v0
	v_mul_f16_sdwa v38, v37, v48 dst_sel:DWORD dst_unused:UNUSED_PAD src0_sel:DWORD src1_sel:WORD_1
	v_mul_f16_sdwa v42, v23, v48 dst_sel:DWORD dst_unused:UNUSED_PAD src0_sel:DWORD src1_sel:WORD_1
	;; [unrolled: 1-line block ×12, first 2 shown]
	v_fma_f16 v23, v23, v48, -v38
	v_fmac_f16_e32 v42, v37, v48
	v_fma_f16 v22, v22, v49, -v60
	v_fma_f16 v21, v21, v50, -v61
	v_fmac_f16_e32 v41, v35, v50
	v_fma_f16 v20, v20, v51, -v62
	v_fmac_f16_e32 v45, v34, v51
	v_fma_f16 v19, v19, v56, -v63
	v_fma_f16 v18, v18, v57, -v64
	v_fmac_f16_e32 v47, v32, v57
	v_mul_f16_sdwa v37, v27, v52 dst_sel:DWORD dst_unused:UNUSED_PAD src0_sel:DWORD src1_sel:WORD_1
	v_mul_f16_sdwa v48, v29, v53 dst_sel:DWORD dst_unused:UNUSED_PAD src0_sel:DWORD src1_sel:WORD_1
	;; [unrolled: 1-line block ×5, first 2 shown]
	v_fmac_f16_e32 v43, v36, v49
	v_fmac_f16_e32 v46, v33, v56
	v_mul_f16_sdwa v33, v6, v52 dst_sel:DWORD dst_unused:UNUSED_PAD src0_sel:DWORD src1_sel:WORD_1
	v_mul_f16_sdwa v34, v7, v53 dst_sel:DWORD dst_unused:UNUSED_PAD src0_sel:DWORD src1_sel:WORD_1
	;; [unrolled: 1-line block ×5, first 2 shown]
	v_fma_f16 v37, v6, v52, -v37
	v_fma_f16 v6, v7, v53, -v48
	v_fmac_f16_e32 v32, v25, v54
	v_fma_f16 v7, v15, v55, -v50
	v_fma_f16 v15, v17, v58, -v51
	v_add_f16_e32 v17, v23, v18
	v_add_f16_e32 v25, v22, v19
	v_fmac_f16_e32 v34, v29, v53
	v_fmac_f16_e32 v35, v39, v55
	;; [unrolled: 1-line block ×3, first 2 shown]
	v_add_f16_e32 v29, v21, v20
	v_sub_f16_e32 v39, v43, v46
	v_sub_f16_e32 v40, v45, v41
	v_add_f16_e32 v48, v25, v17
	v_fmac_f16_e32 v33, v27, v52
	v_sub_f16_e32 v27, v42, v47
	v_fma_f16 v5, v5, v54, -v49
	v_sub_f16_e32 v49, v25, v17
	v_sub_f16_e32 v17, v17, v29
	;; [unrolled: 1-line block ×3, first 2 shown]
	v_add_f16_e32 v50, v40, v39
	v_sub_f16_e32 v51, v40, v39
	v_add_f16_e32 v29, v29, v48
	v_sub_f16_e32 v39, v39, v27
	v_sub_f16_e32 v40, v27, v40
	v_add_f16_e32 v27, v50, v27
	v_mul_f16_e32 v17, 0x3a52, v17
	v_mul_f16_e32 v50, 0xb846, v51
	v_add_f16_e32 v3, v3, v29
	v_mul_f16_e32 v51, 0x3b00, v39
	v_mul_f16_e32 v48, 0x2b26, v25
	v_fmamk_f16 v25, v25, 0x2b26, v17
	v_fmamk_f16 v52, v40, 0x3574, v50
	;; [unrolled: 1-line block ×3, first 2 shown]
	v_fma_f16 v40, v40, 0xb574, -v51
	v_fma_f16 v17, v49, 0xb9e0, -v17
	v_fma_f16 v48, v49, 0x39e0, -v48
	v_fma_f16 v39, v39, 0x3b00, -v50
	v_mul_f16_sdwa v56, v26, v59 dst_sel:DWORD dst_unused:UNUSED_PAD src0_sel:DWORD src1_sel:WORD_1
	v_mul_f16_sdwa v38, v14, v59 dst_sel:DWORD dst_unused:UNUSED_PAD src0_sel:DWORD src1_sel:WORD_1
	v_fmac_f16_e32 v52, 0x370e, v27
	v_add_f16_e32 v25, v25, v29
	v_fmac_f16_e32 v40, 0x370e, v27
	v_add_f16_e32 v17, v17, v29
	;; [unrolled: 2-line block ×3, first 2 shown]
	v_fma_f16 v14, v14, v59, -v56
	v_fmac_f16_e32 v38, v26, v59
	ds_write_b16 v31, v3
	v_add_f16_e32 v3, v52, v25
	v_add_f16_e32 v26, v40, v17
	v_sub_f16_e32 v29, v27, v39
	v_add_f16_e32 v27, v39, v27
	v_sub_f16_e32 v17, v17, v40
	v_sub_f16_e32 v25, v25, v52
	ds_write_b16 v31, v3 offset:22
	ds_write_b16 v31, v26 offset:44
	;; [unrolled: 1-line block ×6, first 2 shown]
	s_and_saveexec_b32 s1, s0
	s_cbranch_execz .LBB0_18
; %bb.17:
	v_add_f16_e32 v3, v37, v14
	v_add_f16_e32 v17, v6, v15
	;; [unrolled: 1-line block ×3, first 2 shown]
	v_sub_f16_e32 v27, v35, v32
	v_sub_f16_e32 v39, v34, v36
	;; [unrolled: 1-line block ×3, first 2 shown]
	v_add_f16_e32 v29, v17, v3
	v_sub_f16_e32 v40, v3, v25
	v_sub_f16_e32 v48, v25, v17
	;; [unrolled: 1-line block ×4, first 2 shown]
	v_add_f16_e32 v25, v25, v29
	v_sub_f16_e32 v29, v27, v39
	v_add_f16_e32 v27, v27, v39
	v_sub_f16_e32 v39, v39, v26
	v_mul_f16_e32 v40, 0x3a52, v40
	v_add_f16_e32 v2, v2, v25
	v_mul_f16_e32 v29, 0xb846, v29
	v_add_f16_e32 v26, v27, v26
	v_mul_f16_e32 v17, 0x3b00, v39
	v_fmamk_f16 v50, v48, 0x2b26, v40
	v_fma_f16 v27, v3, 0xb9e0, -v40
	v_mul_f16_e32 v40, 0x2b26, v48
	v_fmamk_f16 v25, v25, 0xbcab, v2
	v_fmamk_f16 v51, v49, 0x3574, v29
	v_fma_f16 v17, v49, 0xb574, -v17
	v_fma_f16 v29, v39, 0x3b00, -v29
	;; [unrolled: 1-line block ×3, first 2 shown]
	v_mad_u32_u24 v39, 0x9a, v30, 0
	v_lshlrev_b32_sdwa v40, v44, v28 dst_sel:DWORD dst_unused:UNUSED_PAD src0_sel:DWORD src1_sel:BYTE_0
	v_add_f16_e32 v48, v50, v25
	v_fmac_f16_e32 v51, 0x370e, v26
	v_add_f16_e32 v27, v27, v25
	v_fmac_f16_e32 v17, 0x370e, v26
	v_fmac_f16_e32 v29, 0x370e, v26
	v_add_f16_e32 v3, v3, v25
	v_add3_u32 v26, v39, v40, v0
	v_add_f16_e32 v39, v51, v48
	v_sub_f16_e32 v25, v27, v17
	v_add_f16_e32 v17, v17, v27
	v_sub_f16_e32 v27, v3, v29
	;; [unrolled: 2-line block ×3, first 2 shown]
	ds_write_b16 v26, v2
	ds_write_b16 v26, v39 offset:22
	ds_write_b16 v26, v17 offset:44
	;; [unrolled: 1-line block ×6, first 2 shown]
.LBB0_18:
	s_or_b32 exec_lo, exec_lo, s1
	v_add_f16_e32 v2, v42, v47
	v_add_f16_e32 v3, v43, v46
	v_sub_f16_e32 v17, v23, v18
	v_add_f16_e32 v18, v41, v45
	v_sub_f16_e32 v19, v22, v19
	v_sub_f16_e32 v20, v20, v21
	v_add_f16_e32 v21, v3, v2
	v_sub_f16_e32 v22, v3, v2
	v_sub_f16_e32 v2, v2, v18
	;; [unrolled: 1-line block ×3, first 2 shown]
	v_add_f16_e32 v23, v20, v19
	v_add_f16_e32 v18, v18, v21
	v_sub_f16_e32 v21, v20, v19
	v_sub_f16_e32 v19, v19, v17
	;; [unrolled: 1-line block ×3, first 2 shown]
	v_add_f16_e32 v39, v23, v17
	v_add_f16_e32 v40, v24, v18
	v_mul_f16_e32 v21, 0xb846, v21
	v_mul_f16_e32 v2, 0x3a52, v2
	;; [unrolled: 1-line block ×4, first 2 shown]
	v_fmamk_f16 v18, v18, 0xbcab, v40
	v_fma_f16 v42, v19, 0x3b00, -v21
	v_lshlrev_b32_e32 v19, 1, v1
	v_fmamk_f16 v3, v3, 0x2b26, v2
	v_fma_f16 v17, v22, 0x39e0, -v17
	v_fma_f16 v2, v22, 0xb9e0, -v2
	v_fmamk_f16 v41, v20, 0x3574, v21
	v_add3_u32 v29, 0, v19, v0
	v_fma_f16 v43, v20, 0xb574, -v23
	v_add_f16_e32 v3, v3, v18
	v_add_f16_e32 v44, v17, v18
	;; [unrolled: 1-line block ×3, first 2 shown]
	s_waitcnt lgkmcnt(0)
	s_barrier
	buffer_gl0_inv
	ds_read_u16 v17, v16
	ds_read_u16 v25, v29 offset:154
	ds_read_u16 v23, v29 offset:308
	;; [unrolled: 1-line block ×10, first 2 shown]
	v_fmac_f16_e32 v41, 0x370e, v39
	v_fmac_f16_e32 v43, 0x370e, v39
	;; [unrolled: 1-line block ×3, first 2 shown]
	s_waitcnt lgkmcnt(0)
	s_barrier
	v_sub_f16_e32 v39, v3, v41
	v_sub_f16_e32 v45, v2, v43
	v_add_f16_e32 v46, v42, v44
	v_sub_f16_e32 v42, v44, v42
	v_add_f16_e32 v2, v43, v2
	v_add_f16_e32 v3, v41, v3
	buffer_gl0_inv
	ds_write_b16 v31, v40
	ds_write_b16 v31, v39 offset:22
	ds_write_b16 v31, v45 offset:44
	;; [unrolled: 1-line block ×6, first 2 shown]
	s_and_saveexec_b32 s1, s0
	s_cbranch_execz .LBB0_20
; %bb.19:
	v_add_f16_e32 v2, v33, v38
	v_add_f16_e32 v3, v34, v36
	;; [unrolled: 1-line block ×3, first 2 shown]
	v_sub_f16_e32 v6, v6, v15
	v_sub_f16_e32 v5, v7, v5
	v_sub_f16_e32 v14, v37, v14
	v_add_f16_e32 v7, v3, v2
	v_sub_f16_e32 v15, v3, v2
	v_sub_f16_e32 v3, v31, v3
	v_add_f16_e32 v32, v5, v6
	v_sub_f16_e32 v2, v2, v31
	v_add_f16_e32 v7, v31, v7
	v_sub_f16_e32 v31, v5, v6
	v_sub_f16_e32 v5, v14, v5
	;; [unrolled: 1-line block ×3, first 2 shown]
	v_add_f16_e32 v14, v32, v14
	v_add_f16_e32 v4, v4, v7
	v_mul_f16_e32 v32, 0x2b26, v3
	v_mul_f16_e32 v2, 0x3a52, v2
	;; [unrolled: 1-line block ×4, first 2 shown]
	v_fmamk_f16 v7, v7, 0xbcab, v4
	v_fma_f16 v32, v15, 0x39e0, -v32
	v_fmamk_f16 v3, v3, 0x2b26, v2
	v_fma_f16 v2, v15, 0xb9e0, -v2
	;; [unrolled: 2-line block ×3, first 2 shown]
	v_add_f16_e32 v31, v32, v7
	v_mov_b32_e32 v32, 1
	v_fma_f16 v5, v5, 0xb574, -v33
	v_add_f16_e32 v3, v3, v7
	v_add_f16_e32 v2, v2, v7
	v_mad_u32_u24 v7, 0x9a, v30, 0
	v_lshlrev_b32_sdwa v28, v32, v28 dst_sel:DWORD dst_unused:UNUSED_PAD src0_sel:DWORD src1_sel:BYTE_0
	v_fmac_f16_e32 v15, 0x370e, v14
	v_fmac_f16_e32 v5, 0x370e, v14
	;; [unrolled: 1-line block ×3, first 2 shown]
	v_add3_u32 v0, v7, v28, v0
	v_sub_f16_e32 v14, v3, v15
	v_sub_f16_e32 v30, v2, v5
	v_add_f16_e32 v7, v6, v31
	v_sub_f16_e32 v6, v31, v6
	v_add_f16_e32 v2, v5, v2
	v_add_f16_e32 v3, v15, v3
	ds_write_b16 v0, v4
	ds_write_b16 v0, v14 offset:22
	ds_write_b16 v0, v30 offset:44
	;; [unrolled: 1-line block ×6, first 2 shown]
.LBB0_20:
	s_or_b32 exec_lo, exec_lo, s1
	s_waitcnt lgkmcnt(0)
	s_barrier
	buffer_gl0_inv
	s_and_saveexec_b32 s0, vcc_lo
	s_cbranch_execz .LBB0_22
; %bb.21:
	v_mul_u32_u24_e32 v0, 10, v1
	v_mul_lo_u32 v28, s3, v12
	v_mul_lo_u32 v13, s2, v13
	v_mad_u64_u32 v[30:31], null, s2, v12, 0
	v_lshlrev_b32_e32 v4, 2, v0
	v_lshlrev_b64 v[8:9], 2, v[8:9]
	v_lshlrev_b64 v[10:11], 2, v[10:11]
	s_clause 0x2
	global_load_dwordx2 v[14:15], v4, s[12:13] offset:296
	global_load_dwordx4 v[0:3], v4, s[12:13] offset:264
	global_load_dwordx4 v[4:7], v4, s[12:13] offset:280
	v_add3_u32 v31, v31, v13, v28
	ds_read_u16 v28, v29 offset:1540
	ds_read_u16 v13, v29 offset:1386
	;; [unrolled: 1-line block ×7, first 2 shown]
	v_lshlrev_b64 v[30:31], 2, v[30:31]
	v_add_co_u32 v30, vcc_lo, s10, v30
	v_add_co_ci_u32_e32 v31, vcc_lo, s11, v31, vcc_lo
	v_add_co_u32 v8, vcc_lo, v30, v8
	v_add_co_ci_u32_e32 v9, vcc_lo, v31, v9, vcc_lo
	ds_read_u16 v31, v29 offset:1078
	ds_read_u16 v36, v29 offset:924
	;; [unrolled: 1-line block ×3, first 2 shown]
	v_add_co_u32 v8, vcc_lo, v8, v10
	ds_read_u16 v10, v16
	v_add_co_ci_u32_e32 v9, vcc_lo, v9, v11, vcc_lo
	v_add_co_u32 v29, vcc_lo, 0x800, v8
	v_add_co_ci_u32_e32 v30, vcc_lo, 0, v9, vcc_lo
	s_waitcnt vmcnt(2)
	v_mul_f16_sdwa v11, v27, v15 dst_sel:DWORD dst_unused:UNUSED_PAD src0_sel:DWORD src1_sel:WORD_1
	s_waitcnt vmcnt(1)
	v_mul_f16_sdwa v16, v25, v0 dst_sel:DWORD dst_unused:UNUSED_PAD src0_sel:DWORD src1_sel:WORD_1
	s_waitcnt lgkmcnt(7)
	v_mul_f16_sdwa v38, v32, v0 dst_sel:DWORD dst_unused:UNUSED_PAD src0_sel:DWORD src1_sel:WORD_1
	v_mul_f16_sdwa v39, v28, v15 dst_sel:DWORD dst_unused:UNUSED_PAD src0_sel:DWORD src1_sel:WORD_1
	;; [unrolled: 1-line block ×4, first 2 shown]
	s_waitcnt lgkmcnt(6)
	v_mul_f16_sdwa v42, v33, v1 dst_sel:DWORD dst_unused:UNUSED_PAD src0_sel:DWORD src1_sel:WORD_1
	v_mul_f16_sdwa v43, v13, v14 dst_sel:DWORD dst_unused:UNUSED_PAD src0_sel:DWORD src1_sel:WORD_1
	s_waitcnt vmcnt(0)
	v_mul_f16_sdwa v44, v24, v7 dst_sel:DWORD dst_unused:UNUSED_PAD src0_sel:DWORD src1_sel:WORD_1
	v_fmac_f16_e32 v11, v28, v15
	v_fmac_f16_e32 v16, v32, v0
	v_fma_f16 v0, v25, v0, -v38
	v_fma_f16 v15, v27, v15, -v39
	v_mul_f16_sdwa v45, v22, v2 dst_sel:DWORD dst_unused:UNUSED_PAD src0_sel:DWORD src1_sel:WORD_1
	s_waitcnt lgkmcnt(5)
	v_mul_f16_sdwa v46, v34, v2 dst_sel:DWORD dst_unused:UNUSED_PAD src0_sel:DWORD src1_sel:WORD_1
	v_mul_f16_sdwa v47, v12, v7 dst_sel:DWORD dst_unused:UNUSED_PAD src0_sel:DWORD src1_sel:WORD_1
	;; [unrolled: 1-line block ×4, first 2 shown]
	s_waitcnt lgkmcnt(4)
	v_mul_f16_sdwa v50, v35, v3 dst_sel:DWORD dst_unused:UNUSED_PAD src0_sel:DWORD src1_sel:WORD_1
	s_waitcnt lgkmcnt(3)
	v_mul_f16_sdwa v51, v31, v6 dst_sel:DWORD dst_unused:UNUSED_PAD src0_sel:DWORD src1_sel:WORD_1
	v_mul_f16_sdwa v52, v19, v5 dst_sel:DWORD dst_unused:UNUSED_PAD src0_sel:DWORD src1_sel:WORD_1
	;; [unrolled: 1-line block ×3, first 2 shown]
	s_waitcnt lgkmcnt(1)
	v_mul_f16_sdwa v54, v37, v4 dst_sel:DWORD dst_unused:UNUSED_PAD src0_sel:DWORD src1_sel:WORD_1
	v_mul_f16_sdwa v55, v36, v5 dst_sel:DWORD dst_unused:UNUSED_PAD src0_sel:DWORD src1_sel:WORD_1
	v_fmac_f16_e32 v40, v13, v14
	v_fmac_f16_e32 v41, v33, v1
	v_fma_f16 v1, v23, v1, -v42
	v_fma_f16 v13, v26, v14, -v43
	v_fmac_f16_e32 v44, v12, v7
	v_add_f16_e32 v12, v11, v16
	v_sub_f16_e32 v14, v0, v15
	v_sub_f16_e32 v26, v16, v11
	v_add_f16_e32 v27, v15, v0
	s_waitcnt lgkmcnt(0)
	v_add_f16_e32 v16, v10, v16
	v_add_f16_e32 v0, v17, v0
	v_fmac_f16_e32 v45, v34, v2
	v_fma_f16 v2, v22, v2, -v46
	v_fma_f16 v7, v24, v7, -v47
	v_fmac_f16_e32 v48, v31, v6
	v_fmac_f16_e32 v49, v35, v3
	v_fma_f16 v3, v20, v3, -v50
	v_fma_f16 v6, v21, v6, -v51
	v_fmac_f16_e32 v52, v36, v5
	v_fmac_f16_e32 v53, v37, v4
	v_fma_f16 v4, v18, v4, -v54
	v_fma_f16 v5, v19, v5, -v55
	v_add_f16_e32 v16, v16, v41
	v_add_f16_e32 v0, v0, v1
	;; [unrolled: 1-line block ×3, first 2 shown]
	v_sub_f16_e32 v19, v1, v13
	v_add_f16_e32 v20, v44, v45
	v_sub_f16_e32 v21, v2, v7
	v_add_f16_e32 v22, v48, v49
	;; [unrolled: 2-line block ×4, first 2 shown]
	v_add_f16_e32 v0, v0, v2
	v_sub_f16_e32 v28, v41, v40
	v_sub_f16_e32 v32, v45, v44
	;; [unrolled: 1-line block ×4, first 2 shown]
	v_mul_f16_e32 v38, 0x36a6, v12
	v_mul_f16_e32 v39, 0xb93d, v18
	;; [unrolled: 1-line block ×30, first 2 shown]
	v_add_f16_e32 v35, v6, v3
	v_add_f16_e32 v0, v0, v3
	;; [unrolled: 1-line block ×6, first 2 shown]
	v_mul_f16_e32 v1, 0x3beb, v28
	v_mul_f16_e32 v41, 0xba0c, v28
	;; [unrolled: 1-line block ×20, first 2 shown]
	v_fmamk_f16 v89, v14, 0x3b47, v38
	v_fmamk_f16 v90, v19, 0x3a0c, v39
	;; [unrolled: 1-line block ×16, first 2 shown]
	v_fmac_f16_e32 v56, 0xba0c, v14
	v_fmac_f16_e32 v47, 0xbbeb, v14
	v_fmac_f16_e32 v38, 0xbb47, v14
	v_fmamk_f16 v14, v18, 0x3abb, v62
	v_fmac_f16_e32 v57, 0x3beb, v19
	v_fmac_f16_e32 v50, 0x3482, v19
	v_fmac_f16_e32 v39, 0xba0c, v19
	v_fmamk_f16 v19, v20, 0xb93d, v63
	;; [unrolled: 4-line block ×5, first 2 shown]
	v_fma_f16 v61, v12, 0xbbad, -v61
	v_fma_f16 v12, v12, 0x3abb, -v66
	v_fmamk_f16 v66, v18, 0x36a6, v67
	v_fma_f16 v62, v18, 0x3abb, -v62
	v_fma_f16 v18, v18, 0x36a6, -v67
	v_fmamk_f16 v67, v20, 0xb08e, v68
	;; [unrolled: 3-line block ×5, first 2 shown]
	v_fmamk_f16 v105, v27, 0xb08e, v72
	v_fma_f16 v72, v27, 0xb08e, -v72
	v_fmamk_f16 v106, v27, 0x36a6, v71
	v_fma_f16 v71, v27, 0x36a6, -v71
	v_fma_f16 v107, v27, 0xbbad, -v74
	v_fmac_f16_e32 v74, 0xbbad, v27
	v_fma_f16 v108, v27, 0x3abb, -v26
	v_fma_f16 v73, v27, 0xb93d, -v73
	v_add_f16_e32 v0, v0, v4
	v_add_f16_e32 v3, v3, v53
	v_fmac_f16_e32 v26, 0x3abb, v27
	v_fmamk_f16 v27, v31, 0xb08e, v1
	v_fma_f16 v1, v31, 0xb08e, -v1
	v_fmamk_f16 v109, v31, 0xbbad, v75
	v_fma_f16 v75, v31, 0xbbad, -v75
	v_fmamk_f16 v110, v31, 0xb93d, v41
	v_fma_f16 v41, v31, 0xb93d, -v41
	v_fma_f16 v111, v31, 0x3abb, -v76
	v_fmac_f16_e32 v76, 0x3abb, v31
	v_fma_f16 v112, v31, 0x36a6, -v28
	v_fmac_f16_e32 v28, 0x36a6, v31
	v_fmamk_f16 v2, v33, 0x3abb, v77
	v_fma_f16 v31, v33, 0x3abb, -v77
	v_fmamk_f16 v45, v33, 0x36a6, v79
	v_fma_f16 v77, v33, 0x36a6, -v79
	v_fmamk_f16 v79, v33, 0xbbad, v78
	v_fma_f16 v78, v33, 0xbbad, -v78
	v_fma_f16 v113, v33, 0xb93d, -v80
	v_fmac_f16_e32 v80, 0xb93d, v33
	v_fma_f16 v114, v33, 0xb08e, -v32
	;; [unrolled: 10-line block ×4, first 2 shown]
	v_fmac_f16_e32 v36, 0xbbad, v37
	v_add_f16_e32 v16, v10, v89
	v_add_f16_e32 v37, v10, v94
	;; [unrolled: 1-line block ×110, first 2 shown]
	v_pack_b32_f16 v10, v28, v25
	v_pack_b32_f16 v4, v5, v4
	;; [unrolled: 1-line block ×11, first 2 shown]
	global_store_dword v[8:9], v10, off offset:308
	global_store_dword v[8:9], v13, off offset:616
	;; [unrolled: 1-line block ×9, first 2 shown]
	global_store_dword v[8:9], v0, off
	global_store_dword v[29:30], v6, off offset:1032
.LBB0_22:
	s_endpgm
	.section	.rodata,"a",@progbits
	.p2align	6, 0x0
	.amdhsa_kernel fft_rtc_fwd_len847_factors_11_7_11_wgs_231_tpt_77_halfLds_half_op_CI_CI_unitstride_sbrr_dirReg
		.amdhsa_group_segment_fixed_size 0
		.amdhsa_private_segment_fixed_size 0
		.amdhsa_kernarg_size 104
		.amdhsa_user_sgpr_count 6
		.amdhsa_user_sgpr_private_segment_buffer 1
		.amdhsa_user_sgpr_dispatch_ptr 0
		.amdhsa_user_sgpr_queue_ptr 0
		.amdhsa_user_sgpr_kernarg_segment_ptr 1
		.amdhsa_user_sgpr_dispatch_id 0
		.amdhsa_user_sgpr_flat_scratch_init 0
		.amdhsa_user_sgpr_private_segment_size 0
		.amdhsa_wavefront_size32 1
		.amdhsa_uses_dynamic_stack 0
		.amdhsa_system_sgpr_private_segment_wavefront_offset 0
		.amdhsa_system_sgpr_workgroup_id_x 1
		.amdhsa_system_sgpr_workgroup_id_y 0
		.amdhsa_system_sgpr_workgroup_id_z 0
		.amdhsa_system_sgpr_workgroup_info 0
		.amdhsa_system_vgpr_workitem_id 0
		.amdhsa_next_free_vgpr 123
		.amdhsa_next_free_sgpr 27
		.amdhsa_reserve_vcc 1
		.amdhsa_reserve_flat_scratch 0
		.amdhsa_float_round_mode_32 0
		.amdhsa_float_round_mode_16_64 0
		.amdhsa_float_denorm_mode_32 3
		.amdhsa_float_denorm_mode_16_64 3
		.amdhsa_dx10_clamp 1
		.amdhsa_ieee_mode 1
		.amdhsa_fp16_overflow 0
		.amdhsa_workgroup_processor_mode 1
		.amdhsa_memory_ordered 1
		.amdhsa_forward_progress 0
		.amdhsa_shared_vgpr_count 0
		.amdhsa_exception_fp_ieee_invalid_op 0
		.amdhsa_exception_fp_denorm_src 0
		.amdhsa_exception_fp_ieee_div_zero 0
		.amdhsa_exception_fp_ieee_overflow 0
		.amdhsa_exception_fp_ieee_underflow 0
		.amdhsa_exception_fp_ieee_inexact 0
		.amdhsa_exception_int_div_zero 0
	.end_amdhsa_kernel
	.text
.Lfunc_end0:
	.size	fft_rtc_fwd_len847_factors_11_7_11_wgs_231_tpt_77_halfLds_half_op_CI_CI_unitstride_sbrr_dirReg, .Lfunc_end0-fft_rtc_fwd_len847_factors_11_7_11_wgs_231_tpt_77_halfLds_half_op_CI_CI_unitstride_sbrr_dirReg
                                        ; -- End function
	.section	.AMDGPU.csdata,"",@progbits
; Kernel info:
; codeLenInByte = 8668
; NumSgprs: 29
; NumVgprs: 123
; ScratchSize: 0
; MemoryBound: 0
; FloatMode: 240
; IeeeMode: 1
; LDSByteSize: 0 bytes/workgroup (compile time only)
; SGPRBlocks: 3
; VGPRBlocks: 15
; NumSGPRsForWavesPerEU: 29
; NumVGPRsForWavesPerEU: 123
; Occupancy: 8
; WaveLimiterHint : 1
; COMPUTE_PGM_RSRC2:SCRATCH_EN: 0
; COMPUTE_PGM_RSRC2:USER_SGPR: 6
; COMPUTE_PGM_RSRC2:TRAP_HANDLER: 0
; COMPUTE_PGM_RSRC2:TGID_X_EN: 1
; COMPUTE_PGM_RSRC2:TGID_Y_EN: 0
; COMPUTE_PGM_RSRC2:TGID_Z_EN: 0
; COMPUTE_PGM_RSRC2:TIDIG_COMP_CNT: 0
	.text
	.p2alignl 6, 3214868480
	.fill 48, 4, 3214868480
	.type	__hip_cuid_194cfb3abe7d620d,@object ; @__hip_cuid_194cfb3abe7d620d
	.section	.bss,"aw",@nobits
	.globl	__hip_cuid_194cfb3abe7d620d
__hip_cuid_194cfb3abe7d620d:
	.byte	0                               ; 0x0
	.size	__hip_cuid_194cfb3abe7d620d, 1

	.ident	"AMD clang version 19.0.0git (https://github.com/RadeonOpenCompute/llvm-project roc-6.4.0 25133 c7fe45cf4b819c5991fe208aaa96edf142730f1d)"
	.section	".note.GNU-stack","",@progbits
	.addrsig
	.addrsig_sym __hip_cuid_194cfb3abe7d620d
	.amdgpu_metadata
---
amdhsa.kernels:
  - .args:
      - .actual_access:  read_only
        .address_space:  global
        .offset:         0
        .size:           8
        .value_kind:     global_buffer
      - .offset:         8
        .size:           8
        .value_kind:     by_value
      - .actual_access:  read_only
        .address_space:  global
        .offset:         16
        .size:           8
        .value_kind:     global_buffer
      - .actual_access:  read_only
        .address_space:  global
        .offset:         24
        .size:           8
        .value_kind:     global_buffer
      - .actual_access:  read_only
        .address_space:  global
        .offset:         32
        .size:           8
        .value_kind:     global_buffer
      - .offset:         40
        .size:           8
        .value_kind:     by_value
      - .actual_access:  read_only
        .address_space:  global
        .offset:         48
        .size:           8
        .value_kind:     global_buffer
      - .actual_access:  read_only
        .address_space:  global
        .offset:         56
        .size:           8
        .value_kind:     global_buffer
      - .offset:         64
        .size:           4
        .value_kind:     by_value
      - .actual_access:  read_only
        .address_space:  global
        .offset:         72
        .size:           8
        .value_kind:     global_buffer
      - .actual_access:  read_only
        .address_space:  global
        .offset:         80
        .size:           8
        .value_kind:     global_buffer
      - .actual_access:  read_only
        .address_space:  global
        .offset:         88
        .size:           8
        .value_kind:     global_buffer
      - .actual_access:  write_only
        .address_space:  global
        .offset:         96
        .size:           8
        .value_kind:     global_buffer
    .group_segment_fixed_size: 0
    .kernarg_segment_align: 8
    .kernarg_segment_size: 104
    .language:       OpenCL C
    .language_version:
      - 2
      - 0
    .max_flat_workgroup_size: 231
    .name:           fft_rtc_fwd_len847_factors_11_7_11_wgs_231_tpt_77_halfLds_half_op_CI_CI_unitstride_sbrr_dirReg
    .private_segment_fixed_size: 0
    .sgpr_count:     29
    .sgpr_spill_count: 0
    .symbol:         fft_rtc_fwd_len847_factors_11_7_11_wgs_231_tpt_77_halfLds_half_op_CI_CI_unitstride_sbrr_dirReg.kd
    .uniform_work_group_size: 1
    .uses_dynamic_stack: false
    .vgpr_count:     123
    .vgpr_spill_count: 0
    .wavefront_size: 32
    .workgroup_processor_mode: 1
amdhsa.target:   amdgcn-amd-amdhsa--gfx1030
amdhsa.version:
  - 1
  - 2
...

	.end_amdgpu_metadata
